;; amdgpu-corpus repo=ROCm/rocFFT kind=compiled arch=gfx1030 opt=O3
	.text
	.amdgcn_target "amdgcn-amd-amdhsa--gfx1030"
	.amdhsa_code_object_version 6
	.protected	bluestein_single_fwd_len90_dim1_sp_op_CI_CI ; -- Begin function bluestein_single_fwd_len90_dim1_sp_op_CI_CI
	.globl	bluestein_single_fwd_len90_dim1_sp_op_CI_CI
	.p2align	8
	.type	bluestein_single_fwd_len90_dim1_sp_op_CI_CI,@function
bluestein_single_fwd_len90_dim1_sp_op_CI_CI: ; @bluestein_single_fwd_len90_dim1_sp_op_CI_CI
; %bb.0:
	s_load_dwordx4 s[12:15], s[4:5], 0x28
	v_mul_u32_u24_e32 v1, 0x1c72, v0
	v_lshrrev_b32_e32 v1, 16, v1
	v_mad_u64_u32 v[56:57], null, s6, 7, v[1:2]
	v_mov_b32_e32 v57, 0
                                        ; kill: def $vgpr2 killed $sgpr0 killed $exec
	s_mov_b32 s0, exec_lo
	s_waitcnt lgkmcnt(0)
	v_cmpx_gt_u64_e64 s[12:13], v[56:57]
	s_cbranch_execz .LBB0_23
; %bb.1:
	s_clause 0x1
	s_load_dwordx4 s[0:3], s[4:5], 0x18
	s_load_dwordx2 s[12:13], s[4:5], 0x0
	v_mul_lo_u16 v1, v1, 9
	v_mul_hi_u32 v20, 0x24924925, v56
	v_sub_nc_u16 v26, v0, v1
	v_sub_nc_u32_e32 v22, v56, v20
	v_and_b32_e32 v81, 0xffff, v26
	v_lshrrev_b32_e32 v22, 1, v22
	v_or_b32_e32 v79, 48, v81
	v_lshlrev_b32_e32 v21, 3, v81
	s_waitcnt lgkmcnt(0)
	s_load_dwordx4 s[8:11], s[0:1], 0x0
	s_clause 0x1
	global_load_dwordx2 v[71:72], v21, s[12:13]
	global_load_dwordx2 v[69:70], v21, s[12:13] offset:240
	v_add_nc_u32_e32 v20, v22, v20
	v_lshrrev_b32_e32 v20, 2, v20
	v_mul_lo_u32 v20, v20, 7
	s_waitcnt lgkmcnt(0)
	v_mad_u64_u32 v[0:1], null, s10, v56, 0
	v_mad_u64_u32 v[2:3], null, s8, v81, 0
	s_mul_i32 s1, s9, 30
	s_mul_hi_u32 s7, s8, 30
	s_mul_i32 s0, s8, 30
	s_add_i32 s1, s7, s1
	s_mul_i32 s10, s9, 0xffffffcd
	s_lshl_b64 s[16:17], s[0:1], 3
	v_mad_u64_u32 v[4:5], null, s11, v56, v[1:2]
	s_mul_hi_u32 s11, s8, 0xffffffcd
	s_mul_i32 s6, s8, 0xffffffcd
	s_sub_i32 s7, s11, s8
	v_sub_nc_u32_e32 v20, v56, v20
	s_add_i32 s7, s7, s10
	v_mad_u64_u32 v[5:6], null, s9, v81, v[3:4]
	v_mov_b32_e32 v1, v4
	v_mad_u64_u32 v[6:7], null, s8, v79, 0
	s_lshl_b64 s[0:1], s[6:7], 3
	v_mul_u32_u24_e32 v20, 0x5a, v20
	v_lshlrev_b64 v[0:1], 3, v[0:1]
	v_mov_b32_e32 v3, v5
	s_load_dwordx2 s[6:7], s[4:5], 0x38
	v_lshlrev_b32_e32 v82, 3, v20
	v_lshlrev_b64 v[2:3], 3, v[2:3]
	v_add_co_u32 v14, vcc_lo, s14, v0
	v_add_co_ci_u32_e32 v15, vcc_lo, s15, v1, vcc_lo
	v_mov_b32_e32 v0, v7
	v_add_co_u32 v1, vcc_lo, v14, v2
	v_add_co_ci_u32_e32 v2, vcc_lo, v15, v3, vcc_lo
	v_add_nc_u32_e32 v80, v21, v82
	v_mad_u64_u32 v[3:4], null, s9, v79, v[0:1]
	v_add_co_u32 v4, vcc_lo, v1, s16
	v_add_co_ci_u32_e32 v5, vcc_lo, s17, v2, vcc_lo
	v_add_co_u32 v8, vcc_lo, v4, s16
	v_mov_b32_e32 v7, v3
	global_load_dwordx2 v[2:3], v[1:2], off
	v_add_co_ci_u32_e32 v9, vcc_lo, s17, v5, vcc_lo
	v_add_co_u32 v10, vcc_lo, v8, s0
	v_lshlrev_b64 v[6:7], 3, v[6:7]
	v_add_co_ci_u32_e32 v11, vcc_lo, s1, v9, vcc_lo
	v_add_co_u32 v12, vcc_lo, v10, s16
	v_add_co_ci_u32_e32 v13, vcc_lo, s17, v11, vcc_lo
	v_add_co_u32 v6, vcc_lo, v14, v6
	;; [unrolled: 2-line block ×3, first 2 shown]
	v_add_co_ci_u32_e32 v15, vcc_lo, s17, v13, vcc_lo
	s_clause 0x1
	global_load_dwordx2 v[59:60], v21, s[12:13] offset:552
	global_load_dwordx2 v[57:58], v21, s[12:13] offset:384
	global_load_dwordx2 v[6:7], v[6:7], off
	v_add_co_u32 v16, vcc_lo, v14, s0
	v_add_co_ci_u32_e32 v17, vcc_lo, s1, v15, vcc_lo
	global_load_dwordx2 v[4:5], v[4:5], off
	global_load_dwordx2 v[73:74], v21, s[12:13] offset:480
	global_load_dwordx2 v[8:9], v[8:9], off
	global_load_dwordx2 v[67:68], v21, s[12:13] offset:72
	;; [unrolled: 2-line block ×3, first 2 shown]
	global_load_dwordx2 v[12:13], v[12:13], off
	global_load_dwordx2 v[14:15], v[14:15], off
	v_cmp_gt_u16_e32 vcc_lo, 3, v26
	v_mad_u64_u32 v[0:1], null, 0x1e0, s8, v[16:17]
	s_waitcnt vmcnt(11)
	v_mad_u64_u32 v[18:19], null, 0x1e0, s9, v[1:2]
	v_mul_f32_e32 v20, v3, v72
	v_fmac_f32_e32 v20, v2, v71
	v_mov_b32_e32 v1, v18
	global_load_dwordx2 v[63:64], v21, s[12:13] offset:144
	global_load_dwordx2 v[16:17], v[16:17], off
	global_load_dwordx2 v[61:62], v21, s[12:13] offset:624
	global_load_dwordx2 v[18:19], v[0:1], off
	s_load_dwordx4 s[8:11], s[2:3], 0x0
	v_add_co_u32 v54, s2, s12, v21
	v_mul_f32_e32 v21, v2, v72
	v_add_co_ci_u32_e64 v55, null, s13, 0, s2
	v_fma_f32 v21, v3, v71, -v21
	s_waitcnt vmcnt(12)
	v_mul_f32_e32 v22, v7, v58
	s_waitcnt vmcnt(11)
	v_mul_f32_e32 v2, v5, v70
	v_mul_f32_e32 v25, v4, v70
	s_waitcnt vmcnt(9)
	v_mul_f32_e32 v24, v9, v74
	v_mul_f32_e32 v27, v8, v74
	;; [unrolled: 1-line block ×3, first 2 shown]
	v_fmac_f32_e32 v2, v4, v69
	v_fma_f32 v3, v5, v69, -v25
	v_fmac_f32_e32 v24, v8, v73
	v_fma_f32 v25, v9, v73, -v27
	s_waitcnt vmcnt(5)
	v_mul_f32_e32 v4, v13, v66
	v_mul_f32_e32 v5, v12, v66
	ds_write_b64 v80, v[2:3] offset:240
	v_mul_f32_e32 v2, v11, v68
	v_mul_f32_e32 v3, v10, v68
	v_fmac_f32_e32 v22, v6, v57
	v_fma_f32 v23, v7, v57, -v23
	s_waitcnt vmcnt(4)
	v_mul_f32_e32 v6, v15, v60
	v_fmac_f32_e32 v2, v10, v67
	v_fma_f32 v3, v11, v67, -v3
	v_mul_f32_e32 v7, v14, v60
	v_fmac_f32_e32 v4, v12, v65
	v_fma_f32 v5, v13, v65, -v5
	v_fmac_f32_e32 v6, v14, v59
	ds_write_b64 v80, v[24:25] offset:480
	v_fma_f32 v7, v15, v59, -v7
	s_waitcnt vmcnt(2)
	v_mul_f32_e32 v8, v17, v64
	v_mul_f32_e32 v9, v16, v64
	s_waitcnt vmcnt(0)
	v_mul_f32_e32 v10, v19, v62
	v_mul_f32_e32 v11, v18, v62
	v_fmac_f32_e32 v8, v16, v63
	v_fma_f32 v9, v17, v63, -v9
	v_fmac_f32_e32 v10, v18, v61
	v_fma_f32 v11, v19, v61, -v11
	ds_write2_b64 v80, v[20:21], v[2:3] offset1:9
	ds_write_b64 v80, v[8:9] offset:144
	ds_write2_b64 v80, v[4:5], v[22:23] offset0:39 offset1:48
	ds_write2_b64 v80, v[6:7], v[10:11] offset0:69 offset1:78
	s_and_saveexec_b32 s2, vcc_lo
	s_cbranch_execz .LBB0_3
; %bb.2:
	v_add_co_u32 v0, s0, v0, s0
	v_add_co_ci_u32_e64 v1, s0, s1, v1, s0
	global_load_dwordx2 v[4:5], v[54:55], off offset:216
	global_load_dwordx2 v[2:3], v[0:1], off
	v_add_co_u32 v0, s0, v0, s16
	v_add_co_ci_u32_e64 v1, s0, s17, v1, s0
	v_add_co_u32 v6, s0, v0, s16
	v_add_co_ci_u32_e64 v7, s0, s17, v1, s0
	global_load_dwordx2 v[0:1], v[0:1], off
	s_clause 0x1
	global_load_dwordx2 v[8:9], v[54:55], off offset:456
	global_load_dwordx2 v[10:11], v[54:55], off offset:696
	global_load_dwordx2 v[6:7], v[6:7], off
	s_waitcnt vmcnt(4)
	v_mul_f32_e32 v12, v3, v5
	v_mul_f32_e32 v13, v2, v5
	v_fmac_f32_e32 v12, v2, v4
	v_fma_f32 v13, v3, v4, -v13
	s_waitcnt vmcnt(2)
	v_mul_f32_e32 v2, v1, v9
	v_mul_f32_e32 v9, v0, v9
	s_waitcnt vmcnt(0)
	v_mul_f32_e32 v5, v7, v11
	v_mul_f32_e32 v11, v6, v11
	v_fmac_f32_e32 v2, v0, v8
	v_fma_f32 v3, v1, v8, -v9
	v_fmac_f32_e32 v5, v6, v10
	v_fma_f32 v6, v7, v10, -v11
	ds_write2_b64 v80, v[12:13], v[2:3] offset0:27 offset1:57
	ds_write_b64 v80, v[5:6] offset:696
.LBB0_3:
	s_or_b32 exec_lo, exec_lo, s2
	s_waitcnt lgkmcnt(0)
	s_barrier
	buffer_gl0_inv
	ds_read2_b64 v[0:3], v80 offset1:9
	ds_read2_b64 v[4:7], v80 offset0:18 offset1:30
	ds_read2_b64 v[16:19], v80 offset0:60 offset1:69
	;; [unrolled: 1-line block ×3, first 2 shown]
	ds_read_b64 v[20:21], v80 offset:624
                                        ; implicit-def: $vgpr12
                                        ; implicit-def: $vgpr22
	s_and_saveexec_b32 s0, vcc_lo
	s_cbranch_execz .LBB0_5
; %bb.4:
	ds_read2_b64 v[12:15], v80 offset0:27 offset1:57
	ds_read_b64 v[22:23], v80 offset:696
.LBB0_5:
	s_or_b32 exec_lo, exec_lo, s0
	v_add_co_u32 v40, s2, v81, 9
	v_add_co_ci_u32_e64 v24, null, 0, 0, s2
	v_add_co_u32 v41, s2, v81, 18
	v_add_co_ci_u32_e64 v24, null, 0, 0, s2
	s_waitcnt lgkmcnt(2)
	v_add_f32_e32 v24, v6, v16
	v_add_f32_e32 v25, v0, v6
	;; [unrolled: 1-line block ×3, first 2 shown]
	v_sub_f32_e32 v27, v7, v17
	v_add_f32_e32 v7, v1, v7
	v_fma_f32 v0, -0.5, v24, v0
	v_add_f32_e32 v24, v25, v16
	v_fma_f32 v1, -0.5, v26, v1
	v_sub_f32_e32 v16, v6, v16
	v_add_f32_e32 v25, v7, v17
	s_waitcnt lgkmcnt(1)
	v_add_f32_e32 v17, v8, v18
	v_add_f32_e32 v26, v2, v8
	v_fmamk_f32 v6, v27, 0x3f5db3d7, v0
	v_fmac_f32_e32 v0, 0xbf5db3d7, v27
	v_fmamk_f32 v7, v16, 0xbf5db3d7, v1
	v_fmac_f32_e32 v1, 0x3f5db3d7, v16
	v_add_f32_e32 v27, v9, v19
	v_fma_f32 v2, -0.5, v17, v2
	v_sub_f32_e32 v17, v9, v19
	v_add_f32_e32 v16, v26, v18
	v_add_f32_e32 v9, v3, v9
	s_waitcnt lgkmcnt(0)
	v_add_f32_e32 v26, v10, v20
	v_add_f32_e32 v28, v11, v21
	v_fmac_f32_e32 v3, -0.5, v27
	v_sub_f32_e32 v18, v8, v18
	v_fmamk_f32 v8, v17, 0x3f5db3d7, v2
	v_fmac_f32_e32 v2, 0xbf5db3d7, v17
	v_add_f32_e32 v17, v9, v19
	v_add_f32_e32 v19, v4, v10
	v_fma_f32 v4, -0.5, v26, v4
	v_sub_f32_e32 v27, v11, v21
	v_add_f32_e32 v11, v5, v11
	v_fmac_f32_e32 v5, -0.5, v28
	v_sub_f32_e32 v10, v10, v20
	v_fmamk_f32 v9, v18, 0xbf5db3d7, v3
	v_fmac_f32_e32 v3, 0x3f5db3d7, v18
	v_add_f32_e32 v18, v19, v20
	v_fmamk_f32 v26, v27, 0x3f5db3d7, v4
	v_fmac_f32_e32 v4, 0xbf5db3d7, v27
	v_add_f32_e32 v19, v11, v21
	v_add_f32_e32 v11, v12, v14
	v_fmamk_f32 v27, v10, 0xbf5db3d7, v5
	v_fmac_f32_e32 v5, 0x3f5db3d7, v10
	v_add_f32_e32 v10, v15, v23
	s_load_dwordx2 s[0:1], s[4:5], 0x8
	v_add_f32_e32 v21, v14, v22
	v_add_f32_e32 v20, v11, v22
	v_sub_f32_e32 v11, v15, v23
	v_add_f32_e32 v15, v13, v15
	v_fmac_f32_e32 v13, -0.5, v10
	v_mul_lo_u16 v10, v81, 3
	v_fmac_f32_e32 v12, -0.5, v21
	v_add_co_u32 v42, null, v81, 27
	v_sub_f32_e32 v14, v14, v22
	v_and_b32_e32 v10, 0xffff, v10
	v_fmamk_f32 v22, v11, 0x3f5db3d7, v12
	v_fmac_f32_e32 v12, 0xbf5db3d7, v11
	v_mul_u32_u24_e32 v11, 3, v40
	v_add_f32_e32 v21, v15, v23
	v_lshl_add_u32 v84, v10, 3, v82
	v_mul_u32_u24_e32 v10, 3, v41
	v_fmamk_f32 v23, v14, 0xbf5db3d7, v13
	v_fmac_f32_e32 v13, 0x3f5db3d7, v14
	v_lshl_add_u32 v86, v11, 3, v82
	v_mul_u32_u24_e32 v85, 3, v42
	v_lshl_add_u32 v83, v10, 3, v82
	s_waitcnt lgkmcnt(0)
	s_barrier
	buffer_gl0_inv
	ds_write2_b64 v84, v[24:25], v[6:7] offset1:1
	ds_write_b64 v84, v[0:1] offset:16
	ds_write2_b64 v86, v[16:17], v[8:9] offset1:1
	ds_write_b64 v86, v[2:3] offset:16
	;; [unrolled: 2-line block ×3, first 2 shown]
	s_and_saveexec_b32 s2, vcc_lo
	s_cbranch_execz .LBB0_7
; %bb.6:
	v_lshl_add_u32 v0, v85, 3, v82
	ds_write2_b64 v0, v[20:21], v[22:23] offset1:1
	ds_write_b64 v0, v[12:13] offset:16
.LBB0_7:
	s_or_b32 exec_lo, exec_lo, s2
	s_waitcnt lgkmcnt(0)
	s_barrier
	buffer_gl0_inv
	ds_read2_b64 v[24:27], v80 offset1:9
	ds_read2_b64 v[28:31], v80 offset0:18 offset1:30
	ds_read2_b64 v[32:35], v80 offset0:60 offset1:69
	;; [unrolled: 1-line block ×3, first 2 shown]
	ds_read_b64 v[14:15], v80 offset:624
	s_and_saveexec_b32 s2, vcc_lo
	s_cbranch_execz .LBB0_9
; %bb.8:
	ds_read2_b64 v[20:23], v80 offset0:27 offset1:57
	ds_read_b64 v[12:13], v80 offset:696
.LBB0_9:
	s_or_b32 exec_lo, exec_lo, s2
	v_and_b32_e32 v0, 0xff, v81
	v_and_b32_e32 v1, 0xff, v41
	;; [unrolled: 1-line block ×4, first 2 shown]
	v_mov_b32_e32 v47, 9
	v_mul_lo_u16 v0, 0xab, v0
	v_mul_lo_u16 v1, 0xab, v1
	;; [unrolled: 1-line block ×3, first 2 shown]
	v_lshrrev_b16 v43, 9, v0
	v_lshrrev_b16 v44, 9, v1
	v_mul_lo_u16 v0, 0xab, v3
	v_lshrrev_b16 v45, 9, v2
	v_mov_b32_e32 v3, 4
	v_mul_lo_u16 v1, v43, 3
	v_mul_lo_u16 v2, v44, 3
	v_lshrrev_b16 v0, 9, v0
	v_mul_lo_u16 v4, v45, 3
	v_mul_u32_u24_sdwa v44, v44, v47 dst_sel:DWORD dst_unused:UNUSED_PAD src0_sel:WORD_0 src1_sel:DWORD
	v_sub_nc_u16 v46, v81, v1
	v_sub_nc_u16 v41, v41, v2
	v_mul_lo_u16 v0, v0, 3
	v_sub_nc_u16 v40, v40, v4
	v_lshlrev_b16 v1, 1, v46
	v_lshlrev_b32_sdwa v2, v3, v41 dst_sel:DWORD dst_unused:UNUSED_PAD src0_sel:DWORD src1_sel:BYTE_0
	v_sub_nc_u16 v42, v42, v0
	v_lshlrev_b16 v0, 1, v40
	v_mad_u16 v43, v43, 9, v46
	v_and_b32_e32 v1, 0xfe, v1
	global_load_dwordx4 v[4:7], v2, s[0:1]
	v_mad_u16 v40, v45, 9, v40
	v_and_b32_e32 v0, 0xfe, v0
	v_add_nc_u32_sdwa v41, v44, v41 dst_sel:DWORD dst_unused:UNUSED_PAD src0_sel:DWORD src1_sel:BYTE_0
	v_lshlrev_b32_e32 v1, 3, v1
	v_and_b32_e32 v43, 0xff, v43
	v_and_b32_e32 v40, 0xff, v40
	v_lshlrev_b32_e32 v0, 3, v0
	v_and_b32_e32 v87, 0xff, v42
	global_load_dwordx4 v[16:19], v1, s[0:1]
	v_lshlrev_b16 v2, 1, v42
	v_lshl_add_u32 v88, v41, 3, v82
	v_lshl_add_u32 v90, v43, 3, v82
	;; [unrolled: 1-line block ×3, first 2 shown]
	v_and_b32_e32 v2, 0xfe, v2
	v_lshlrev_b32_e32 v1, 3, v2
	s_clause 0x1
	global_load_dwordx4 v[8:11], v0, s[0:1]
	global_load_dwordx4 v[0:3], v1, s[0:1]
	s_waitcnt vmcnt(0) lgkmcnt(0)
	s_barrier
	buffer_gl0_inv
	v_mul_f32_e32 v40, v39, v5
	v_mul_f32_e32 v41, v38, v5
	;; [unrolled: 1-line block ×4, first 2 shown]
	v_fma_f32 v38, v38, v4, -v40
	v_fmac_f32_e32 v41, v39, v4
	v_fma_f32 v39, v14, v6, -v42
	v_fmac_f32_e32 v43, v15, v6
	v_mul_f32_e32 v40, v31, v17
	v_mul_f32_e32 v42, v30, v17
	;; [unrolled: 1-line block ×4, first 2 shown]
	v_add_f32_e32 v52, v28, v38
	v_sub_f32_e32 v75, v41, v43
	v_add_f32_e32 v76, v29, v41
	v_add_f32_e32 v41, v41, v43
	v_fmac_f32_e32 v45, v33, v18
	v_fmac_f32_e32 v42, v31, v16
	v_add_f32_e32 v53, v38, v39
	v_sub_f32_e32 v38, v38, v39
	v_fmac_f32_e32 v29, -0.5, v41
	v_add_f32_e32 v31, v76, v43
	v_mul_f32_e32 v46, v37, v9
	v_mul_f32_e32 v47, v36, v9
	;; [unrolled: 1-line block ×8, first 2 shown]
	v_fma_f32 v36, v36, v8, -v46
	v_fmac_f32_e32 v47, v37, v8
	v_fma_f32 v37, v32, v18, -v44
	v_fma_f32 v34, v34, v10, -v48
	;; [unrolled: 1-line block ×4, first 2 shown]
	v_fmac_f32_e32 v15, v23, v0
	v_fma_f32 v12, v12, v2, -v51
	v_fmac_f32_e32 v14, v13, v2
	v_fmac_f32_e32 v49, v35, v10
	v_add_f32_e32 v30, v52, v39
	v_add_f32_e32 v13, v24, v32
	;; [unrolled: 1-line block ×3, first 2 shown]
	v_sub_f32_e32 v35, v42, v45
	v_add_f32_e32 v39, v25, v42
	v_add_f32_e32 v40, v42, v45
	v_add_f32_e32 v41, v26, v36
	v_add_f32_e32 v42, v36, v34
	v_sub_f32_e32 v48, v36, v34
	v_add_f32_e32 v36, v22, v12
	v_add_f32_e32 v51, v15, v14
	v_sub_f32_e32 v46, v47, v49
	v_add_f32_e32 v43, v27, v47
	v_add_f32_e32 v47, v47, v49
	v_sub_f32_e32 v44, v32, v37
	v_fmamk_f32 v33, v38, 0xbf5db3d7, v29
	v_fmac_f32_e32 v29, 0x3f5db3d7, v38
	v_sub_f32_e32 v50, v15, v14
	v_sub_f32_e32 v52, v22, v12
	v_add_f32_e32 v38, v13, v37
	v_fma_f32 v23, -0.5, v23, v24
	v_fma_f32 v24, -0.5, v40, v25
	;; [unrolled: 1-line block ×5, first 2 shown]
	v_fmac_f32_e32 v27, -0.5, v47
	v_fma_f32 v28, -0.5, v53, v28
	v_add_f32_e32 v39, v39, v45
	v_add_f32_e32 v40, v41, v34
	;; [unrolled: 1-line block ×3, first 2 shown]
	v_fmamk_f32 v42, v35, 0x3f5db3d7, v23
	v_fmac_f32_e32 v23, 0xbf5db3d7, v35
	v_fmamk_f32 v43, v44, 0xbf5db3d7, v24
	v_fmamk_f32 v34, v50, 0x3f5db3d7, v36
	v_fmac_f32_e32 v36, 0xbf5db3d7, v50
	v_fmamk_f32 v35, v52, 0xbf5db3d7, v37
	v_fmac_f32_e32 v37, 0x3f5db3d7, v52
	v_fmac_f32_e32 v24, 0x3f5db3d7, v44
	v_fmamk_f32 v44, v46, 0x3f5db3d7, v26
	v_fmamk_f32 v45, v48, 0xbf5db3d7, v27
	v_fmac_f32_e32 v26, 0xbf5db3d7, v46
	v_fmac_f32_e32 v27, 0x3f5db3d7, v48
	v_fmamk_f32 v32, v75, 0x3f5db3d7, v28
	v_fmac_f32_e32 v28, 0xbf5db3d7, v75
	ds_write2_b64 v90, v[38:39], v[42:43] offset1:3
	ds_write_b64 v90, v[23:24] offset:48
	ds_write2_b64 v89, v[40:41], v[44:45] offset1:3
	ds_write_b64 v89, v[26:27] offset:48
	;; [unrolled: 2-line block ×3, first 2 shown]
	s_and_saveexec_b32 s2, vcc_lo
	s_cbranch_execz .LBB0_11
; %bb.10:
	v_add_f32_e32 v13, v21, v15
	v_add_f32_e32 v15, v20, v22
	v_lshl_add_u32 v20, v87, 3, v82
	v_add_f32_e32 v13, v13, v14
	v_add_f32_e32 v12, v15, v12
	ds_write2_b64 v20, v[12:13], v[34:35] offset0:81 offset1:84
	ds_write_b64 v20, v[36:37] offset:696
.LBB0_11:
	s_or_b32 exec_lo, exec_lo, s2
	v_mad_u64_u32 v[32:33], null, 0x48, v81, s[0:1]
	s_waitcnt lgkmcnt(0)
	s_barrier
	buffer_gl0_inv
	v_lshlrev_b32_e32 v38, 3, v81
	s_add_u32 s0, s12, 0x2d0
	s_addc_u32 s1, s13, 0
	s_clause 0x4
	global_load_dwordx4 v[28:31], v[32:33], off offset:48
	global_load_dwordx4 v[24:27], v[32:33], off offset:64
	;; [unrolled: 1-line block ×4, first 2 shown]
	global_load_dwordx2 v[75:76], v[32:33], off offset:112
	ds_read2_b64 v[39:42], v80 offset1:9
	ds_read2_b64 v[43:46], v80 offset0:18 offset1:27
	ds_read2_b64 v[47:50], v80 offset0:36 offset1:45
	;; [unrolled: 1-line block ×4, first 2 shown]
	s_waitcnt vmcnt(4) lgkmcnt(4)
	v_mul_f32_e32 v32, v42, v29
	v_mul_f32_e32 v33, v41, v29
	s_waitcnt lgkmcnt(3)
	v_mul_f32_e32 v51, v44, v31
	v_mul_f32_e32 v52, v43, v31
	s_waitcnt vmcnt(3)
	v_mul_f32_e32 v53, v46, v25
	v_mul_f32_e32 v77, v45, v25
	s_waitcnt lgkmcnt(2)
	v_mul_f32_e32 v78, v48, v27
	v_mul_f32_e32 v99, v47, v27
	s_waitcnt vmcnt(2)
	;; [unrolled: 6-line block ×4, first 2 shown]
	v_mul_f32_e32 v108, v98, v76
	v_mul_f32_e32 v109, v97, v76
	v_fma_f32 v32, v41, v28, -v32
	v_fmac_f32_e32 v33, v42, v28
	v_fma_f32 v41, v43, v30, -v51
	v_fmac_f32_e32 v52, v44, v30
	;; [unrolled: 2-line block ×9, first 2 shown]
	v_add_f32_e32 v49, v39, v41
	v_add_f32_e32 v50, v43, v45
	v_sub_f32_e32 v51, v52, v107
	v_sub_f32_e32 v78, v41, v43
	;; [unrolled: 1-line block ×3, first 2 shown]
	v_add_f32_e32 v92, v41, v47
	v_sub_f32_e32 v93, v43, v41
	v_sub_f32_e32 v94, v45, v47
	v_add_f32_e32 v95, v40, v52
	v_add_f32_e32 v96, v99, v103
	v_sub_f32_e32 v98, v52, v99
	v_sub_f32_e32 v100, v107, v103
	v_add_f32_e32 v102, v52, v107
	v_sub_f32_e32 v52, v99, v52
	v_sub_f32_e32 v104, v103, v107
	v_add_f32_e32 v106, v32, v42
	v_add_f32_e32 v108, v44, v46
	;; [unrolled: 1-line block ×6, first 2 shown]
	v_sub_f32_e32 v97, v43, v45
	v_sub_f32_e32 v110, v77, v109
	;; [unrolled: 1-line block ×6, first 2 shown]
	v_add_f32_e32 v43, v49, v43
	v_fma_f32 v124, -0.5, v50, v39
	v_add_f32_e32 v49, v78, v91
	v_fma_f32 v78, -0.5, v92, v39
	;; [unrolled: 2-line block ×4, first 2 shown]
	v_add_f32_e32 v40, v52, v104
	v_add_f32_e32 v44, v106, v44
	v_fma_f32 v52, -0.5, v108, v32
	v_fma_f32 v98, -0.5, v118, v33
	v_sub_f32_e32 v111, v101, v105
	v_add_f32_e32 v50, v95, v99
	v_fmac_f32_e32 v32, -0.5, v114
	v_add_f32_e32 v96, v117, v101
	v_fmac_f32_e32 v33, -0.5, v122
	v_sub_f32_e32 v113, v48, v46
	v_sub_f32_e32 v116, v46, v48
	;; [unrolled: 1-line block ×4, first 2 shown]
	v_add_f32_e32 v44, v44, v46
	v_fmamk_f32 v46, v110, 0x3f737871, v52
	v_fmamk_f32 v104, v42, 0xbf737871, v98
	v_sub_f32_e32 v53, v99, v103
	v_sub_f32_e32 v77, v101, v77
	;; [unrolled: 1-line block ×3, first 2 shown]
	v_add_f32_e32 v43, v43, v45
	v_add_f32_e32 v45, v50, v103
	v_fmamk_f32 v50, v111, 0xbf737871, v32
	v_fmac_f32_e32 v32, 0x3f737871, v111
	v_add_f32_e32 v96, v96, v105
	v_fmamk_f32 v105, v119, 0x3f737871, v33
	v_fmac_f32_e32 v33, 0xbf737871, v119
	v_fmac_f32_e32 v52, 0xbf737871, v110
	;; [unrolled: 1-line block ×3, first 2 shown]
	v_sub_f32_e32 v41, v41, v47
	v_add_f32_e32 v94, v112, v113
	v_add_f32_e32 v99, v120, v121
	v_fmac_f32_e32 v46, 0x3f167918, v111
	v_fmac_f32_e32 v104, 0xbf167918, v119
	v_add_f32_e32 v95, v115, v116
	v_add_f32_e32 v77, v77, v123
	v_fmamk_f32 v101, v53, 0xbf737871, v78
	v_fmac_f32_e32 v78, 0x3f737871, v53
	v_fmamk_f32 v103, v97, 0x3f737871, v92
	v_fmac_f32_e32 v92, 0xbf737871, v97
	v_fmac_f32_e32 v50, 0x3f167918, v110
	;; [unrolled: 1-line block ×7, first 2 shown]
	v_fmamk_f32 v100, v51, 0x3f737871, v124
	v_fmamk_f32 v102, v41, 0xbf737871, v93
	v_fmac_f32_e32 v46, 0x3e9e377a, v94
	v_fmac_f32_e32 v104, 0x3e9e377a, v99
	v_fmac_f32_e32 v124, 0xbf737871, v51
	v_fmac_f32_e32 v93, 0x3f737871, v41
	v_add_f32_e32 v43, v43, v47
	v_fmac_f32_e32 v101, 0x3f167918, v51
	v_fmac_f32_e32 v78, 0xbf167918, v51
	v_add_f32_e32 v45, v45, v107
	v_fmac_f32_e32 v103, 0xbf167918, v41
	v_fmac_f32_e32 v92, 0x3f167918, v41
	v_add_f32_e32 v41, v44, v48
	v_add_f32_e32 v44, v96, v109
	v_fmac_f32_e32 v50, 0x3e9e377a, v95
	v_fmac_f32_e32 v32, 0x3e9e377a, v95
	;; [unrolled: 1-line block ×8, first 2 shown]
	v_mul_f32_e32 v51, 0x3f167918, v104
	v_mul_f32_e32 v94, 0xbf167918, v46
	v_fmac_f32_e32 v124, 0xbf167918, v53
	v_fmac_f32_e32 v101, 0x3e9e377a, v39
	;; [unrolled: 1-line block ×5, first 2 shown]
	v_add_f32_e32 v39, v43, v41
	v_add_f32_e32 v40, v45, v44
	v_sub_f32_e32 v41, v43, v41
	v_sub_f32_e32 v42, v45, v44
	v_mul_f32_e32 v53, 0x3f737871, v105
	v_mul_f32_e32 v43, 0x3e9e377a, v32
	;; [unrolled: 1-line block ×4, first 2 shown]
	v_fmac_f32_e32 v93, 0x3f167918, v97
	v_mul_f32_e32 v44, 0x3f4f1bbd, v52
	v_mul_f32_e32 v47, 0x3f4f1bbd, v98
	v_fmac_f32_e32 v100, 0x3e9e377a, v49
	v_fmac_f32_e32 v102, 0x3e9e377a, v91
	;; [unrolled: 1-line block ×5, first 2 shown]
	v_fma_f32 v33, 0x3f737871, v33, -v43
	v_fmac_f32_e32 v95, 0x3e9e377a, v105
	v_fma_f32 v97, 0xbf737871, v32, -v45
	v_fmac_f32_e32 v124, 0x3e9e377a, v49
	v_fmac_f32_e32 v93, 0x3e9e377a, v91
	v_fma_f32 v96, 0x3f167918, v98, -v44
	v_fma_f32 v98, 0xbf167918, v52, -v47
	v_add_f32_e32 v43, v100, v51
	v_add_f32_e32 v44, v102, v94
	;; [unrolled: 1-line block ×8, first 2 shown]
	v_sub_f32_e32 v51, v100, v51
	v_sub_f32_e32 v77, v101, v53
	;; [unrolled: 1-line block ×8, first 2 shown]
	ds_write2_b64 v80, v[39:40], v[43:44] offset1:9
	ds_write2_b64 v80, v[45:46], v[47:48] offset0:18 offset1:27
	ds_write2_b64 v80, v[49:50], v[41:42] offset0:36 offset1:45
	;; [unrolled: 1-line block ×4, first 2 shown]
	s_waitcnt lgkmcnt(0)
	s_barrier
	buffer_gl0_inv
	s_clause 0x8
	global_load_dwordx2 v[51:52], v[54:55], off offset:720
	global_load_dwordx2 v[77:78], v38, s[0:1] offset:240
	global_load_dwordx2 v[95:96], v38, s[0:1] offset:480
	;; [unrolled: 1-line block ×8, first 2 shown]
	ds_read2_b64 v[39:42], v80 offset1:9
	ds_read2_b64 v[43:46], v80 offset0:18 offset1:30
	ds_read2_b64 v[47:50], v80 offset0:60 offset1:69
	;; [unrolled: 1-line block ×3, first 2 shown]
	ds_read_b64 v[109:110], v80 offset:624
	s_waitcnt vmcnt(8) lgkmcnt(4)
	v_mul_f32_e32 v111, v40, v52
	v_mul_f32_e32 v53, v39, v52
	s_waitcnt vmcnt(7) lgkmcnt(3)
	v_mul_f32_e32 v113, v46, v78
	v_mul_f32_e32 v112, v45, v78
	s_waitcnt vmcnt(6) lgkmcnt(2)
	v_mul_f32_e32 v114, v48, v96
	v_mul_f32_e32 v78, v47, v96
	s_waitcnt vmcnt(5)
	v_mul_f32_e32 v115, v42, v98
	v_mul_f32_e32 v96, v41, v98
	s_waitcnt vmcnt(4) lgkmcnt(1)
	v_mul_f32_e32 v116, v92, v100
	v_mul_f32_e32 v98, v91, v100
	s_waitcnt vmcnt(3)
	v_mul_f32_e32 v117, v50, v102
	v_mul_f32_e32 v100, v49, v102
	s_waitcnt vmcnt(2)
	;; [unrolled: 3-line block ×3, first 2 shown]
	v_mul_f32_e32 v119, v94, v106
	v_mul_f32_e32 v104, v93, v106
	s_waitcnt vmcnt(0) lgkmcnt(0)
	v_mul_f32_e32 v120, v110, v108
	v_mul_f32_e32 v106, v109, v108
	v_fma_f32 v52, v39, v51, -v111
	v_fmac_f32_e32 v53, v40, v51
	v_fma_f32 v111, v45, v77, -v113
	v_fmac_f32_e32 v112, v46, v77
	;; [unrolled: 2-line block ×9, first 2 shown]
	ds_write2_b64 v80, v[52:53], v[95:96] offset1:9
	ds_write2_b64 v80, v[77:78], v[99:100] offset0:60 offset1:69
	ds_write2_b64 v80, v[101:102], v[111:112] offset0:18 offset1:30
	;; [unrolled: 1-line block ×3, first 2 shown]
	ds_write_b64 v80, v[105:106] offset:624
	s_and_saveexec_b32 s2, vcc_lo
	s_cbranch_execz .LBB0_13
; %bb.12:
	v_add_co_u32 v38, s0, s0, v38
	v_add_co_ci_u32_e64 v39, null, s1, 0, s0
	s_clause 0x2
	global_load_dwordx2 v[42:43], v[38:39], off offset:216
	global_load_dwordx2 v[44:45], v[38:39], off offset:456
	;; [unrolled: 1-line block ×3, first 2 shown]
	ds_read2_b64 v[38:41], v80 offset0:27 offset1:57
	ds_read_b64 v[48:49], v80 offset:696
	s_waitcnt vmcnt(2) lgkmcnt(1)
	v_mul_f32_e32 v50, v39, v43
	v_mul_f32_e32 v51, v38, v43
	s_waitcnt vmcnt(1)
	v_mul_f32_e32 v52, v41, v45
	v_mul_f32_e32 v43, v40, v45
	s_waitcnt vmcnt(0) lgkmcnt(0)
	v_mul_f32_e32 v53, v49, v47
	v_mul_f32_e32 v45, v48, v47
	v_fma_f32 v50, v38, v42, -v50
	v_fmac_f32_e32 v51, v39, v42
	v_fma_f32 v42, v40, v44, -v52
	v_fmac_f32_e32 v43, v41, v44
	;; [unrolled: 2-line block ×3, first 2 shown]
	ds_write2_b64 v80, v[50:51], v[42:43] offset0:27 offset1:57
	ds_write_b64 v80, v[44:45] offset:696
.LBB0_13:
	s_or_b32 exec_lo, exec_lo, s2
	s_waitcnt lgkmcnt(0)
	s_barrier
	buffer_gl0_inv
	ds_read2_b64 v[42:45], v80 offset1:9
	ds_read2_b64 v[38:41], v80 offset0:18 offset1:30
	ds_read2_b64 v[50:53], v80 offset0:60 offset1:69
	;; [unrolled: 1-line block ×3, first 2 shown]
	ds_read_b64 v[77:78], v80 offset:624
	s_and_saveexec_b32 s0, vcc_lo
	s_cbranch_execz .LBB0_15
; %bb.14:
	ds_read2_b64 v[32:35], v80 offset0:27 offset1:57
	ds_read_b64 v[36:37], v80 offset:696
.LBB0_15:
	s_or_b32 exec_lo, exec_lo, s0
	s_waitcnt lgkmcnt(2)
	v_add_f32_e32 v91, v40, v50
	v_add_f32_e32 v92, v42, v40
	v_sub_f32_e32 v93, v41, v51
	v_add_f32_e32 v94, v41, v51
	v_add_f32_e32 v41, v43, v41
	v_fma_f32 v42, -0.5, v91, v42
	v_sub_f32_e32 v91, v40, v50
	v_add_f32_e32 v40, v92, v50
	s_waitcnt lgkmcnt(1)
	v_add_f32_e32 v92, v46, v52
	v_fma_f32 v43, -0.5, v94, v43
	v_fmamk_f32 v50, v93, 0xbf5db3d7, v42
	v_fmac_f32_e32 v42, 0x3f5db3d7, v93
	v_add_f32_e32 v93, v44, v46
	v_add_f32_e32 v94, v47, v53
	v_fma_f32 v44, -0.5, v92, v44
	v_sub_f32_e32 v92, v47, v53
	v_add_f32_e32 v47, v45, v47
	v_add_f32_e32 v41, v41, v51
	v_fmamk_f32 v51, v91, 0x3f5db3d7, v43
	v_fmac_f32_e32 v43, 0xbf5db3d7, v91
	v_add_f32_e32 v91, v93, v52
	v_fmac_f32_e32 v45, -0.5, v94
	v_sub_f32_e32 v52, v46, v52
	v_fmamk_f32 v46, v92, 0xbf5db3d7, v44
	v_fmac_f32_e32 v44, 0x3f5db3d7, v92
	v_add_f32_e32 v92, v47, v53
	s_waitcnt lgkmcnt(0)
	v_add_f32_e32 v53, v48, v77
	v_add_f32_e32 v93, v38, v48
	;; [unrolled: 1-line block ×3, first 2 shown]
	v_fmamk_f32 v47, v52, 0x3f5db3d7, v45
	v_fmac_f32_e32 v45, 0xbf5db3d7, v52
	v_fma_f32 v38, -0.5, v53, v38
	v_sub_f32_e32 v53, v49, v78
	v_add_f32_e32 v52, v93, v77
	v_add_f32_e32 v49, v39, v49
	v_fmac_f32_e32 v39, -0.5, v94
	v_sub_f32_e32 v77, v48, v77
	v_fmamk_f32 v48, v53, 0xbf5db3d7, v38
	v_fmac_f32_e32 v38, 0x3f5db3d7, v53
	v_add_f32_e32 v53, v49, v78
	v_add_f32_e32 v78, v34, v36
	v_fmamk_f32 v49, v77, 0x3f5db3d7, v39
	v_fmac_f32_e32 v39, 0xbf5db3d7, v77
	v_add_f32_e32 v77, v35, v37
	v_add_f32_e32 v93, v32, v34
	v_fmac_f32_e32 v32, -0.5, v78
	v_sub_f32_e32 v78, v35, v37
	v_add_f32_e32 v35, v33, v35
	v_fmac_f32_e32 v33, -0.5, v77
	v_sub_f32_e32 v77, v34, v36
	v_add_f32_e32 v34, v93, v36
	v_fmamk_f32 v36, v78, 0xbf5db3d7, v32
	v_fmac_f32_e32 v32, 0x3f5db3d7, v78
	v_add_f32_e32 v35, v35, v37
	v_fmamk_f32 v37, v77, 0x3f5db3d7, v33
	v_fmac_f32_e32 v33, 0xbf5db3d7, v77
	s_barrier
	buffer_gl0_inv
	ds_write2_b64 v84, v[40:41], v[50:51] offset1:1
	ds_write_b64 v84, v[42:43] offset:16
	ds_write2_b64 v86, v[91:92], v[46:47] offset1:1
	ds_write_b64 v86, v[44:45] offset:16
	;; [unrolled: 2-line block ×3, first 2 shown]
	s_and_saveexec_b32 s0, vcc_lo
	s_cbranch_execz .LBB0_17
; %bb.16:
	v_lshl_add_u32 v38, v85, 3, v82
	ds_write2_b64 v38, v[34:35], v[36:37] offset1:1
	ds_write_b64 v38, v[32:33] offset:16
.LBB0_17:
	s_or_b32 exec_lo, exec_lo, s0
	s_waitcnt lgkmcnt(0)
	s_barrier
	buffer_gl0_inv
	ds_read2_b64 v[42:45], v80 offset1:9
	ds_read2_b64 v[38:41], v80 offset0:18 offset1:30
	ds_read2_b64 v[50:53], v80 offset0:60 offset1:69
	;; [unrolled: 1-line block ×3, first 2 shown]
	ds_read_b64 v[77:78], v80 offset:624
	s_and_saveexec_b32 s0, vcc_lo
	s_cbranch_execz .LBB0_19
; %bb.18:
	ds_read2_b64 v[34:37], v80 offset0:27 offset1:57
	ds_read_b64 v[32:33], v80 offset:696
.LBB0_19:
	s_or_b32 exec_lo, exec_lo, s0
	s_waitcnt lgkmcnt(3)
	v_mul_f32_e32 v83, v17, v41
	v_mul_f32_e32 v17, v17, v40
	s_waitcnt lgkmcnt(2)
	v_mul_f32_e32 v84, v19, v51
	v_mul_f32_e32 v19, v19, v50
	s_waitcnt lgkmcnt(0)
	v_fmac_f32_e32 v83, v16, v40
	v_fma_f32 v16, v16, v41, -v17
	v_mul_f32_e32 v17, v9, v47
	v_fmac_f32_e32 v84, v18, v50
	v_mul_f32_e32 v9, v9, v46
	v_fma_f32 v18, v18, v51, -v19
	v_mul_f32_e32 v41, v5, v49
	v_fmac_f32_e32 v17, v8, v46
	v_mul_f32_e32 v5, v5, v48
	v_mul_f32_e32 v46, v7, v78
	;; [unrolled: 1-line block ×5, first 2 shown]
	v_fma_f32 v40, v8, v47, -v9
	v_fmac_f32_e32 v41, v4, v48
	v_fma_f32 v47, v4, v49, -v5
	v_add_f32_e32 v4, v83, v84
	v_add_f32_e32 v5, v42, v83
	v_fma_f32 v48, v6, v78, -v7
	v_add_f32_e32 v7, v16, v18
	v_fmac_f32_e32 v19, v10, v52
	v_fma_f32 v11, v10, v53, -v11
	v_fmac_f32_e32 v46, v6, v77
	v_fma_f32 v4, -0.5, v4, v42
	v_sub_f32_e32 v9, v16, v18
	v_add_f32_e32 v6, v5, v84
	v_add_f32_e32 v10, v43, v16
	v_fma_f32 v5, -0.5, v7, v43
	v_sub_f32_e32 v16, v83, v84
	v_fmamk_f32 v8, v9, 0xbf5db3d7, v4
	v_fmac_f32_e32 v4, 0x3f5db3d7, v9
	v_add_f32_e32 v7, v10, v18
	v_add_f32_e32 v10, v17, v19
	v_fmamk_f32 v9, v16, 0x3f5db3d7, v5
	v_add_f32_e32 v18, v44, v17
	v_fmac_f32_e32 v5, 0xbf5db3d7, v16
	v_add_f32_e32 v16, v40, v11
	v_fma_f32 v44, -0.5, v10, v44
	v_sub_f32_e32 v42, v40, v11
	v_add_f32_e32 v10, v18, v19
	v_add_f32_e32 v18, v45, v40
	v_fmac_f32_e32 v45, -0.5, v16
	v_sub_f32_e32 v19, v17, v19
	v_fmamk_f32 v16, v42, 0xbf5db3d7, v44
	v_fmac_f32_e32 v44, 0x3f5db3d7, v42
	v_add_f32_e32 v11, v18, v11
	v_add_f32_e32 v18, v41, v46
	v_fmamk_f32 v17, v19, 0x3f5db3d7, v45
	v_fmac_f32_e32 v45, 0xbf5db3d7, v19
	v_add_f32_e32 v19, v47, v48
	v_add_f32_e32 v40, v38, v41
	v_fma_f32 v38, -0.5, v18, v38
	v_sub_f32_e32 v42, v47, v48
	v_add_f32_e32 v43, v39, v47
	v_fmac_f32_e32 v39, -0.5, v19
	v_sub_f32_e32 v47, v41, v46
	v_add_f32_e32 v18, v40, v46
	v_fmamk_f32 v40, v42, 0xbf5db3d7, v38
	v_add_f32_e32 v19, v43, v48
	v_fmac_f32_e32 v38, 0x3f5db3d7, v42
	v_fmamk_f32 v41, v47, 0x3f5db3d7, v39
	v_fmac_f32_e32 v39, 0xbf5db3d7, v47
	s_barrier
	buffer_gl0_inv
	ds_write2_b64 v90, v[6:7], v[8:9] offset1:3
	ds_write_b64 v90, v[4:5] offset:48
	ds_write2_b64 v89, v[10:11], v[16:17] offset1:3
	ds_write_b64 v89, v[44:45] offset:48
	;; [unrolled: 2-line block ×3, first 2 shown]
	s_and_saveexec_b32 s0, vcc_lo
	s_cbranch_execz .LBB0_21
; %bb.20:
	v_mul_f32_e32 v4, v1, v36
	v_mul_f32_e32 v5, v3, v32
	;; [unrolled: 1-line block ×4, first 2 shown]
	v_fma_f32 v3, v0, v37, -v4
	v_fma_f32 v4, v2, v33, -v5
	v_fmac_f32_e32 v1, v0, v36
	v_fmac_f32_e32 v6, v2, v32
	v_add_f32_e32 v5, v35, v3
	v_add_f32_e32 v0, v3, v4
	v_add_f32_e32 v8, v34, v1
	v_add_f32_e32 v2, v1, v6
	v_sub_f32_e32 v7, v1, v6
	v_sub_f32_e32 v9, v3, v4
	v_fma_f32 v1, -0.5, v0, v35
	v_add_f32_e32 v3, v5, v4
	v_fma_f32 v0, -0.5, v2, v34
	v_add_f32_e32 v2, v8, v6
	v_lshl_add_u32 v6, v87, 3, v82
	v_fmamk_f32 v5, v7, 0xbf5db3d7, v1
	v_fmac_f32_e32 v1, 0x3f5db3d7, v7
	v_fmamk_f32 v4, v9, 0x3f5db3d7, v0
	v_fmac_f32_e32 v0, 0xbf5db3d7, v9
	ds_write2_b64 v6, v[2:3], v[0:1] offset0:81 offset1:84
	ds_write_b64 v6, v[4:5] offset:696
.LBB0_21:
	s_or_b32 exec_lo, exec_lo, s0
	s_waitcnt lgkmcnt(0)
	s_barrier
	buffer_gl0_inv
	ds_read2_b64 v[0:3], v80 offset1:9
	ds_read2_b64 v[4:7], v80 offset0:18 offset1:27
	ds_read2_b64 v[8:11], v80 offset0:36 offset1:45
	ds_read2_b64 v[16:19], v80 offset0:54 offset1:63
	ds_read2_b64 v[32:35], v80 offset0:72 offset1:81
	s_mov_b32 s2, 0x16c16c17
	s_mov_b32 s3, 0x3f86c16c
	s_mul_hi_u32 s1, s8, 30
	s_waitcnt lgkmcnt(4)
	v_mul_f32_e32 v36, v29, v3
	s_waitcnt lgkmcnt(3)
	v_mul_f32_e32 v38, v25, v7
	;; [unrolled: 2-line block ×3, first 2 shown]
	v_mul_f32_e32 v37, v31, v5
	v_mul_f32_e32 v31, v31, v4
	;; [unrolled: 1-line block ×6, first 2 shown]
	v_fmac_f32_e32 v38, v24, v6
	s_waitcnt lgkmcnt(1)
	v_mul_f32_e32 v6, v23, v17
	v_fmac_f32_e32 v40, v20, v10
	s_waitcnt lgkmcnt(0)
	v_mul_f32_e32 v10, v15, v32
	v_mul_f32_e32 v15, v15, v33
	;; [unrolled: 1-line block ×3, first 2 shown]
	v_fmac_f32_e32 v36, v28, v2
	v_fmac_f32_e32 v37, v30, v4
	v_fma_f32 v2, v30, v5, -v31
	v_fma_f32 v4, v24, v7, -v25
	v_fmac_f32_e32 v39, v26, v8
	v_fma_f32 v5, v26, v9, -v27
	v_mul_f32_e32 v7, v23, v16
	v_fma_f32 v9, v20, v11, -v21
	v_fmac_f32_e32 v6, v22, v16
	v_mul_f32_e32 v11, v13, v18
	v_fmac_f32_e32 v15, v14, v32
	v_mul_f32_e32 v8, v13, v19
	v_fma_f32 v7, v22, v17, -v7
	v_add_f32_e32 v13, v39, v6
	v_fma_f32 v10, v14, v33, -v10
	v_add_f32_e32 v17, v0, v37
	v_fma_f32 v11, v12, v19, -v11
	v_sub_f32_e32 v19, v37, v39
	v_sub_f32_e32 v20, v15, v6
	v_add_f32_e32 v21, v37, v15
	v_fmac_f32_e32 v8, v12, v18
	v_fma_f32 v13, -0.5, v13, v0
	v_sub_f32_e32 v18, v2, v10
	v_add_f32_e32 v12, v17, v39
	v_sub_f32_e32 v17, v5, v7
	v_mul_f32_e32 v22, v76, v34
	v_add_f32_e32 v19, v19, v20
	v_fma_f32 v20, -0.5, v21, v0
	v_fmamk_f32 v14, v18, 0xbf737871, v13
	v_add_f32_e32 v12, v12, v6
	v_fma_f32 v0, v75, v35, -v22
	v_fmac_f32_e32 v13, 0x3f737871, v18
	v_fmamk_f32 v21, v17, 0x3f737871, v20
	v_sub_f32_e32 v22, v39, v37
	v_sub_f32_e32 v23, v6, v15
	v_add_f32_e32 v24, v1, v2
	v_add_f32_e32 v25, v5, v7
	v_fmac_f32_e32 v20, 0xbf737871, v17
	v_fmac_f32_e32 v14, 0xbf167918, v17
	v_add_f32_e32 v12, v12, v15
	v_fmac_f32_e32 v13, 0x3f167918, v17
	v_fmac_f32_e32 v21, 0xbf167918, v18
	v_add_f32_e32 v22, v22, v23
	v_add_f32_e32 v17, v24, v5
	v_fma_f32 v23, -0.5, v25, v1
	v_sub_f32_e32 v15, v37, v15
	v_fmac_f32_e32 v20, 0x3f167918, v18
	v_add_f32_e32 v18, v2, v10
	v_mul_f32_e32 v16, v76, v35
	v_fmac_f32_e32 v14, 0x3e9e377a, v19
	v_fmac_f32_e32 v13, 0x3e9e377a, v19
	;; [unrolled: 1-line block ×3, first 2 shown]
	v_add_f32_e32 v17, v17, v7
	v_fmamk_f32 v19, v15, 0x3f737871, v23
	v_sub_f32_e32 v6, v39, v6
	v_sub_f32_e32 v24, v2, v5
	v_sub_f32_e32 v25, v10, v7
	v_fmac_f32_e32 v20, 0x3e9e377a, v22
	v_fma_f32 v22, -0.5, v18, v1
	v_fmac_f32_e32 v23, 0xbf737871, v15
	v_sub_f32_e32 v2, v5, v2
	v_sub_f32_e32 v5, v7, v10
	v_add_f32_e32 v7, v36, v38
	v_fmac_f32_e32 v16, v75, v34
	v_fmac_f32_e32 v19, 0x3f167918, v6
	v_add_f32_e32 v1, v24, v25
	v_fmamk_f32 v24, v6, 0xbf737871, v22
	v_fmac_f32_e32 v23, 0xbf167918, v6
	v_add_f32_e32 v2, v2, v5
	v_fmac_f32_e32 v22, 0x3f737871, v6
	v_add_f32_e32 v5, v7, v40
	v_add_f32_e32 v6, v40, v8
	v_fmac_f32_e32 v19, 0x3e9e377a, v1
	v_fmac_f32_e32 v24, 0x3f167918, v15
	;; [unrolled: 1-line block ×4, first 2 shown]
	v_add_f32_e32 v1, v5, v8
	v_fma_f32 v5, -0.5, v6, v36
	v_add_f32_e32 v6, v38, v16
	v_sub_f32_e32 v7, v4, v0
	v_add_f32_e32 v17, v17, v10
	v_fmac_f32_e32 v24, 0x3e9e377a, v2
	v_fmac_f32_e32 v22, 0x3e9e377a, v2
	v_add_f32_e32 v10, v1, v16
	v_sub_f32_e32 v1, v9, v11
	v_fmac_f32_e32 v36, -0.5, v6
	v_fmamk_f32 v15, v7, 0xbf737871, v5
	v_sub_f32_e32 v2, v38, v40
	v_sub_f32_e32 v6, v16, v8
	v_fmac_f32_e32 v5, 0x3f737871, v7
	v_fma_f32 v3, v28, v3, -v29
	v_fmac_f32_e32 v15, 0xbf167918, v1
	v_fmamk_f32 v18, v1, 0x3f737871, v36
	v_add_f32_e32 v2, v2, v6
	v_fmac_f32_e32 v5, 0x3f167918, v1
	v_sub_f32_e32 v25, v40, v38
	v_sub_f32_e32 v26, v8, v16
	v_fmac_f32_e32 v36, 0xbf737871, v1
	v_add_f32_e32 v1, v9, v11
	v_fmac_f32_e32 v15, 0x3e9e377a, v2
	v_fmac_f32_e32 v5, 0x3e9e377a, v2
	v_add_f32_e32 v2, v4, v0
	v_fmac_f32_e32 v18, 0xbf167918, v7
	v_add_f32_e32 v6, v25, v26
	v_fmac_f32_e32 v36, 0x3f167918, v7
	v_fma_f32 v1, -0.5, v1, v3
	v_sub_f32_e32 v7, v38, v16
	v_add_f32_e32 v16, v3, v4
	v_sub_f32_e32 v8, v40, v8
	v_fmac_f32_e32 v3, -0.5, v2
	v_fmac_f32_e32 v18, 0x3e9e377a, v6
	v_fmac_f32_e32 v36, 0x3e9e377a, v6
	v_fmamk_f32 v25, v7, 0x3f737871, v1
	v_sub_f32_e32 v2, v4, v9
	v_sub_f32_e32 v6, v0, v11
	v_fmamk_f32 v26, v8, 0xbf737871, v3
	v_sub_f32_e32 v4, v9, v4
	v_sub_f32_e32 v27, v11, v0
	v_fmac_f32_e32 v3, 0x3f737871, v8
	v_fmac_f32_e32 v1, 0xbf737871, v7
	;; [unrolled: 1-line block ×3, first 2 shown]
	v_add_f32_e32 v2, v2, v6
	v_fmac_f32_e32 v26, 0x3f167918, v7
	v_add_f32_e32 v4, v4, v27
	v_fmac_f32_e32 v3, 0xbf167918, v7
	v_fmac_f32_e32 v1, 0xbf167918, v8
	v_add_f32_e32 v6, v16, v9
	v_fmac_f32_e32 v25, 0x3e9e377a, v2
	v_fmac_f32_e32 v26, 0x3e9e377a, v4
	;; [unrolled: 1-line block ×4, first 2 shown]
	v_add_f32_e32 v4, v6, v11
	v_mul_f32_e32 v11, 0xbf167918, v25
	v_mul_f32_e32 v25, 0x3f4f1bbd, v25
	;; [unrolled: 1-line block ×8, first 2 shown]
	v_add_f32_e32 v28, v4, v0
	v_fmac_f32_e32 v11, 0x3f4f1bbd, v15
	v_fmac_f32_e32 v25, 0x3f167918, v15
	;; [unrolled: 1-line block ×8, first 2 shown]
	v_add_f32_e32 v0, v12, v10
	v_add_f32_e32 v2, v14, v11
	;; [unrolled: 1-line block ×10, first 2 shown]
	v_sub_f32_e32 v10, v12, v10
	v_sub_f32_e32 v12, v14, v11
	;; [unrolled: 1-line block ×10, first 2 shown]
	ds_write2_b64 v80, v[0:1], v[2:3] offset1:9
	ds_write2_b64 v80, v[4:5], v[6:7] offset0:18 offset1:27
	ds_write2_b64 v80, v[8:9], v[10:11] offset0:36 offset1:45
	;; [unrolled: 1-line block ×4, first 2 shown]
	s_waitcnt lgkmcnt(0)
	s_barrier
	buffer_gl0_inv
	ds_read2_b64 v[0:3], v80 offset1:9
	ds_read2_b64 v[4:7], v80 offset0:18 offset1:30
	v_mad_u64_u32 v[14:15], null, s10, v56, 0
	v_mad_u64_u32 v[16:17], null, s8, v81, 0
	;; [unrolled: 1-line block ×3, first 2 shown]
	s_waitcnt lgkmcnt(1)
	v_mul_f32_e32 v8, v72, v1
	v_mul_f32_e32 v9, v72, v0
	s_waitcnt lgkmcnt(0)
	v_mul_f32_e32 v18, v70, v7
	v_mul_f32_e32 v31, v64, v5
	v_fmac_f32_e32 v8, v71, v0
	v_fma_f32 v9, v71, v1, -v9
	v_fmac_f32_e32 v18, v69, v6
	v_mul_f32_e32 v6, v70, v6
	v_fmac_f32_e32 v31, v63, v4
	v_cvt_f64_f32_e32 v[0:1], v8
	v_cvt_f64_f32_e32 v[12:13], v9
	ds_read2_b64 v[8:11], v80 offset0:60 offset1:69
	v_cvt_f64_f32_e32 v[18:19], v18
	v_fma_f32 v20, v69, v7, -v6
	v_mov_b32_e32 v6, v15
	v_mov_b32_e32 v7, v17
	v_mul_f32_e32 v4, v64, v4
	v_cvt_f64_f32_e32 v[31:32], v31
	v_cvt_f64_f32_e32 v[20:21], v20
	v_mad_u64_u32 v[22:23], null, s11, v56, v[6:7]
	v_fma_f32 v4, v63, v5, -v4
	v_cvt_f64_f32_e32 v[4:5], v4
	v_mul_f64 v[0:1], v[0:1], s[2:3]
	s_waitcnt lgkmcnt(0)
	v_mul_f32_e32 v15, v74, v9
	v_mul_f32_e32 v17, v74, v8
	v_mad_u64_u32 v[6:7], null, s9, v81, v[7:8]
	v_mul_f64 v[12:13], v[12:13], s[2:3]
	v_fmac_f32_e32 v15, v73, v8
	v_fma_f32 v7, v73, v9, -v17
	v_mul_f32_e32 v8, v68, v3
	v_mul_f64 v[18:19], v[18:19], s[2:3]
	v_mul_f32_e32 v30, v60, v10
	v_cvt_f64_f32_e32 v[23:24], v15
	v_cvt_f64_f32_e32 v[25:26], v7
	v_fmac_f32_e32 v8, v67, v2
	v_mov_b32_e32 v15, v22
	v_mov_b32_e32 v17, v6
	v_mul_f32_e32 v2, v68, v2
	v_mul_f64 v[4:5], v[4:5], s[2:3]
	v_lshlrev_b64 v[14:15], 3, v[14:15]
	v_fma_f32 v3, v67, v3, -v2
	v_cvt_f32_f64_e32 v27, v[0:1]
	v_cvt_f64_f32_e32 v[0:1], v8
	ds_read2_b64 v[6:9], v80 offset0:39 offset1:48
	v_add_co_u32 v43, s0, s6, v14
	v_cvt_f32_f64_e32 v28, v[12:13]
	v_lshlrev_b64 v[12:13], 3, v[16:17]
	v_mul_f64 v[16:17], v[20:21], s[2:3]
	v_add_co_ci_u32_e64 v44, s0, s7, v15, s0
	v_cvt_f32_f64_e32 v2, v[18:19]
	v_mul_f64 v[14:15], v[23:24], s[2:3]
	v_mul_f64 v[20:21], v[25:26], s[2:3]
	v_cvt_f64_f32_e32 v[18:19], v3
	v_mul_f32_e32 v26, v60, v11
	v_add_co_u32 v12, s0, v43, v12
	v_add_co_ci_u32_e64 v13, s0, v44, v13, s0
	v_fmac_f32_e32 v26, v59, v10
	s_mul_i32 s0, s9, 30
	v_cvt_f32_f64_e32 v40, v[4:5]
	s_waitcnt lgkmcnt(0)
	v_mul_f32_e32 v22, v66, v7
	v_mul_f64 v[0:1], v[0:1], s[2:3]
	v_mul_f32_e32 v23, v66, v6
	s_add_i32 s1, s1, s0
	s_mul_i32 s0, s8, 30
	v_fmac_f32_e32 v22, v65, v6
	s_lshl_b64 s[4:5], s[0:1], 3
	v_fma_f32 v23, v65, v7, -v23
	v_cvt_f32_f64_e32 v3, v[16:17]
	v_add_co_u32 v6, s0, v12, s4
	v_cvt_f32_f64_e32 v14, v[14:15]
	v_cvt_f32_f64_e32 v15, v[20:21]
	ds_read_b64 v[20:21], v80 offset:624
	v_cvt_f64_f32_e32 v[16:17], v22
	v_cvt_f64_f32_e32 v[22:23], v23
	v_add_co_ci_u32_e64 v7, s0, s5, v13, s0
	v_add_co_u32 v24, s0, v6, s4
	s_mul_hi_u32 s1, s8, 0xffffffcd
	v_add_co_ci_u32_e64 v25, s0, s5, v7, s0
	v_cvt_f32_f64_e32 v29, v[0:1]
	v_mul_f64 v[0:1], v[18:19], s[2:3]
	v_fma_f32 v18, v59, v11, -v30
	v_cvt_f64_f32_e32 v[10:11], v26
	v_mul_f32_e32 v26, v58, v9
	v_mul_f32_e32 v30, v58, v8
	s_mul_i32 s0, s9, 0xffffffcd
	v_cvt_f64_f32_e32 v[18:19], v18
	s_sub_i32 s1, s1, s8
	v_fmac_f32_e32 v26, v57, v8
	s_waitcnt lgkmcnt(0)
	v_mul_f32_e32 v33, v62, v21
	v_mul_f32_e32 v34, v62, v20
	v_fma_f32 v30, v57, v9, -v30
	v_mul_f64 v[16:17], v[16:17], s[2:3]
	v_cvt_f64_f32_e32 v[8:9], v26
	v_fmac_f32_e32 v33, v61, v20
	v_fma_f32 v35, v61, v21, -v34
	v_cvt_f64_f32_e32 v[20:21], v30
	v_mul_f64 v[22:23], v[22:23], s[2:3]
	s_add_i32 s1, s1, s0
	v_cvt_f64_f32_e32 v[33:34], v33
	v_cvt_f64_f32_e32 v[35:36], v35
	s_mul_i32 s0, s8, 0xffffffcd
	v_cvt_f32_f64_e32 v30, v[0:1]
	v_mul_f64 v[0:1], v[31:32], s[2:3]
	v_mul_f64 v[10:11], v[10:11], s[2:3]
	s_lshl_b64 s[6:7], s[0:1], 3
	global_store_dwordx2 v[12:13], v[27:28], off
	global_store_dwordx2 v[6:7], v[2:3], off
	global_store_dwordx2 v[24:25], v[14:15], off
	v_add_co_u32 v31, s0, v24, s6
	v_mul_f64 v[18:19], v[18:19], s[2:3]
	v_add_co_ci_u32_e64 v32, s0, s7, v25, s0
	v_cvt_f32_f64_e32 v16, v[16:17]
	v_mul_f64 v[8:9], v[8:9], s[2:3]
	v_mul_f64 v[20:21], v[20:21], s[2:3]
	v_cvt_f32_f64_e32 v17, v[22:23]
	v_add_co_u32 v22, s0, v31, s4
	v_mul_f64 v[33:34], v[33:34], s[2:3]
	v_mul_f64 v[35:36], v[35:36], s[2:3]
	v_add_co_ci_u32_e64 v23, s0, s5, v32, s0
	v_cvt_f32_f64_e32 v39, v[0:1]
	v_mov_b32_e32 v0, v38
	v_cvt_f32_f64_e32 v10, v[10:11]
	global_store_dwordx2 v[31:32], v[29:30], off
	global_store_dwordx2 v[22:23], v[16:17], off
	v_cvt_f32_f64_e32 v11, v[18:19]
	v_add_co_u32 v18, s0, v22, s4
	v_mad_u64_u32 v[4:5], null, s9, v79, v[0:1]
	v_add_co_ci_u32_e64 v19, s0, s5, v23, s0
	v_add_co_u32 v41, s0, v18, s6
	v_cvt_f32_f64_e32 v8, v[8:9]
	v_add_co_ci_u32_e64 v42, s0, s7, v19, s0
	v_mov_b32_e32 v38, v4
	v_cvt_f32_f64_e32 v9, v[20:21]
	v_cvt_f32_f64_e32 v20, v[33:34]
	v_mad_u64_u32 v[0:1], null, 0x1e0, s8, v[41:42]
	v_cvt_f32_f64_e32 v21, v[35:36]
	v_lshlrev_b64 v[2:3], 3, v[37:38]
	v_mad_u64_u32 v[4:5], null, 0x1e0, s9, v[1:2]
	v_add_co_u32 v2, s0, v43, v2
	v_add_co_ci_u32_e64 v3, s0, v44, v3, s0
	v_mov_b32_e32 v1, v4
	global_store_dwordx2 v[18:19], v[10:11], off
	global_store_dwordx2 v[41:42], v[39:40], off
	;; [unrolled: 1-line block ×4, first 2 shown]
	s_and_b32 exec_lo, exec_lo, vcc_lo
	s_cbranch_execz .LBB0_23
; %bb.22:
	s_clause 0x2
	global_load_dwordx2 v[6:7], v[54:55], off offset:216
	global_load_dwordx2 v[8:9], v[54:55], off offset:456
	;; [unrolled: 1-line block ×3, first 2 shown]
	ds_read2_b64 v[2:5], v80 offset0:27 offset1:57
	ds_read_b64 v[12:13], v80 offset:696
	v_add_co_u32 v0, vcc_lo, v0, s6
	v_add_co_ci_u32_e32 v1, vcc_lo, s7, v1, vcc_lo
	s_waitcnt vmcnt(2) lgkmcnt(1)
	v_mul_f32_e32 v14, v3, v7
	v_mul_f32_e32 v7, v2, v7
	s_waitcnt vmcnt(1)
	v_mul_f32_e32 v15, v5, v9
	v_mul_f32_e32 v9, v4, v9
	s_waitcnt vmcnt(0) lgkmcnt(0)
	v_mul_f32_e32 v16, v13, v11
	v_mul_f32_e32 v11, v12, v11
	v_fmac_f32_e32 v14, v2, v6
	v_fma_f32 v6, v6, v3, -v7
	v_fmac_f32_e32 v15, v4, v8
	v_fma_f32 v8, v8, v5, -v9
	;; [unrolled: 2-line block ×3, first 2 shown]
	v_cvt_f64_f32_e32 v[2:3], v14
	v_cvt_f64_f32_e32 v[4:5], v6
	;; [unrolled: 1-line block ×6, first 2 shown]
	v_mul_f64 v[2:3], v[2:3], s[2:3]
	v_mul_f64 v[4:5], v[4:5], s[2:3]
	;; [unrolled: 1-line block ×6, first 2 shown]
	v_cvt_f32_f64_e32 v2, v[2:3]
	v_cvt_f32_f64_e32 v3, v[4:5]
	;; [unrolled: 1-line block ×6, first 2 shown]
	v_add_co_u32 v8, vcc_lo, v0, s4
	v_add_co_ci_u32_e32 v9, vcc_lo, s5, v1, vcc_lo
	v_add_co_u32 v10, vcc_lo, v8, s4
	v_add_co_ci_u32_e32 v11, vcc_lo, s5, v9, vcc_lo
	global_store_dwordx2 v[0:1], v[2:3], off
	global_store_dwordx2 v[8:9], v[4:5], off
	;; [unrolled: 1-line block ×3, first 2 shown]
.LBB0_23:
	s_endpgm
	.section	.rodata,"a",@progbits
	.p2align	6, 0x0
	.amdhsa_kernel bluestein_single_fwd_len90_dim1_sp_op_CI_CI
		.amdhsa_group_segment_fixed_size 5040
		.amdhsa_private_segment_fixed_size 0
		.amdhsa_kernarg_size 104
		.amdhsa_user_sgpr_count 6
		.amdhsa_user_sgpr_private_segment_buffer 1
		.amdhsa_user_sgpr_dispatch_ptr 0
		.amdhsa_user_sgpr_queue_ptr 0
		.amdhsa_user_sgpr_kernarg_segment_ptr 1
		.amdhsa_user_sgpr_dispatch_id 0
		.amdhsa_user_sgpr_flat_scratch_init 0
		.amdhsa_user_sgpr_private_segment_size 0
		.amdhsa_wavefront_size32 1
		.amdhsa_uses_dynamic_stack 0
		.amdhsa_system_sgpr_private_segment_wavefront_offset 0
		.amdhsa_system_sgpr_workgroup_id_x 1
		.amdhsa_system_sgpr_workgroup_id_y 0
		.amdhsa_system_sgpr_workgroup_id_z 0
		.amdhsa_system_sgpr_workgroup_info 0
		.amdhsa_system_vgpr_workitem_id 0
		.amdhsa_next_free_vgpr 125
		.amdhsa_next_free_sgpr 18
		.amdhsa_reserve_vcc 1
		.amdhsa_reserve_flat_scratch 0
		.amdhsa_float_round_mode_32 0
		.amdhsa_float_round_mode_16_64 0
		.amdhsa_float_denorm_mode_32 3
		.amdhsa_float_denorm_mode_16_64 3
		.amdhsa_dx10_clamp 1
		.amdhsa_ieee_mode 1
		.amdhsa_fp16_overflow 0
		.amdhsa_workgroup_processor_mode 1
		.amdhsa_memory_ordered 1
		.amdhsa_forward_progress 0
		.amdhsa_shared_vgpr_count 0
		.amdhsa_exception_fp_ieee_invalid_op 0
		.amdhsa_exception_fp_denorm_src 0
		.amdhsa_exception_fp_ieee_div_zero 0
		.amdhsa_exception_fp_ieee_overflow 0
		.amdhsa_exception_fp_ieee_underflow 0
		.amdhsa_exception_fp_ieee_inexact 0
		.amdhsa_exception_int_div_zero 0
	.end_amdhsa_kernel
	.text
.Lfunc_end0:
	.size	bluestein_single_fwd_len90_dim1_sp_op_CI_CI, .Lfunc_end0-bluestein_single_fwd_len90_dim1_sp_op_CI_CI
                                        ; -- End function
	.section	.AMDGPU.csdata,"",@progbits
; Kernel info:
; codeLenInByte = 8116
; NumSgprs: 20
; NumVgprs: 125
; ScratchSize: 0
; MemoryBound: 0
; FloatMode: 240
; IeeeMode: 1
; LDSByteSize: 5040 bytes/workgroup (compile time only)
; SGPRBlocks: 2
; VGPRBlocks: 15
; NumSGPRsForWavesPerEU: 20
; NumVGPRsForWavesPerEU: 125
; Occupancy: 8
; WaveLimiterHint : 1
; COMPUTE_PGM_RSRC2:SCRATCH_EN: 0
; COMPUTE_PGM_RSRC2:USER_SGPR: 6
; COMPUTE_PGM_RSRC2:TRAP_HANDLER: 0
; COMPUTE_PGM_RSRC2:TGID_X_EN: 1
; COMPUTE_PGM_RSRC2:TGID_Y_EN: 0
; COMPUTE_PGM_RSRC2:TGID_Z_EN: 0
; COMPUTE_PGM_RSRC2:TIDIG_COMP_CNT: 0
	.text
	.p2alignl 6, 3214868480
	.fill 48, 4, 3214868480
	.type	__hip_cuid_d70b283e2c53ad41,@object ; @__hip_cuid_d70b283e2c53ad41
	.section	.bss,"aw",@nobits
	.globl	__hip_cuid_d70b283e2c53ad41
__hip_cuid_d70b283e2c53ad41:
	.byte	0                               ; 0x0
	.size	__hip_cuid_d70b283e2c53ad41, 1

	.ident	"AMD clang version 19.0.0git (https://github.com/RadeonOpenCompute/llvm-project roc-6.4.0 25133 c7fe45cf4b819c5991fe208aaa96edf142730f1d)"
	.section	".note.GNU-stack","",@progbits
	.addrsig
	.addrsig_sym __hip_cuid_d70b283e2c53ad41
	.amdgpu_metadata
---
amdhsa.kernels:
  - .args:
      - .actual_access:  read_only
        .address_space:  global
        .offset:         0
        .size:           8
        .value_kind:     global_buffer
      - .actual_access:  read_only
        .address_space:  global
        .offset:         8
        .size:           8
        .value_kind:     global_buffer
      - .actual_access:  read_only
        .address_space:  global
        .offset:         16
        .size:           8
        .value_kind:     global_buffer
      - .actual_access:  read_only
        .address_space:  global
        .offset:         24
        .size:           8
        .value_kind:     global_buffer
      - .actual_access:  read_only
        .address_space:  global
        .offset:         32
        .size:           8
        .value_kind:     global_buffer
      - .offset:         40
        .size:           8
        .value_kind:     by_value
      - .address_space:  global
        .offset:         48
        .size:           8
        .value_kind:     global_buffer
      - .address_space:  global
        .offset:         56
        .size:           8
        .value_kind:     global_buffer
      - .address_space:  global
        .offset:         64
        .size:           8
        .value_kind:     global_buffer
      - .address_space:  global
        .offset:         72
        .size:           8
        .value_kind:     global_buffer
      - .offset:         80
        .size:           4
        .value_kind:     by_value
      - .address_space:  global
        .offset:         88
        .size:           8
        .value_kind:     global_buffer
      - .address_space:  global
        .offset:         96
        .size:           8
        .value_kind:     global_buffer
    .group_segment_fixed_size: 5040
    .kernarg_segment_align: 8
    .kernarg_segment_size: 104
    .language:       OpenCL C
    .language_version:
      - 2
      - 0
    .max_flat_workgroup_size: 63
    .name:           bluestein_single_fwd_len90_dim1_sp_op_CI_CI
    .private_segment_fixed_size: 0
    .sgpr_count:     20
    .sgpr_spill_count: 0
    .symbol:         bluestein_single_fwd_len90_dim1_sp_op_CI_CI.kd
    .uniform_work_group_size: 1
    .uses_dynamic_stack: false
    .vgpr_count:     125
    .vgpr_spill_count: 0
    .wavefront_size: 32
    .workgroup_processor_mode: 1
amdhsa.target:   amdgcn-amd-amdhsa--gfx1030
amdhsa.version:
  - 1
  - 2
...

	.end_amdgpu_metadata
